;; amdgpu-corpus repo=ROCm/rocFFT kind=compiled arch=gfx1030 opt=O3
	.text
	.amdgcn_target "amdgcn-amd-amdhsa--gfx1030"
	.amdhsa_code_object_version 6
	.protected	fft_rtc_back_len1040_factors_13_16_5_wgs_208_tpt_208_halfLds_half_ip_CI_unitstride_sbrr_R2C_dirReg ; -- Begin function fft_rtc_back_len1040_factors_13_16_5_wgs_208_tpt_208_halfLds_half_ip_CI_unitstride_sbrr_R2C_dirReg
	.globl	fft_rtc_back_len1040_factors_13_16_5_wgs_208_tpt_208_halfLds_half_ip_CI_unitstride_sbrr_R2C_dirReg
	.p2align	8
	.type	fft_rtc_back_len1040_factors_13_16_5_wgs_208_tpt_208_halfLds_half_ip_CI_unitstride_sbrr_R2C_dirReg,@function
fft_rtc_back_len1040_factors_13_16_5_wgs_208_tpt_208_halfLds_half_ip_CI_unitstride_sbrr_R2C_dirReg: ; @fft_rtc_back_len1040_factors_13_16_5_wgs_208_tpt_208_halfLds_half_ip_CI_unitstride_sbrr_R2C_dirReg
; %bb.0:
	s_clause 0x2
	s_load_dwordx4 s[8:11], s[4:5], 0x0
	s_load_dwordx2 s[2:3], s[4:5], 0x50
	s_load_dwordx2 s[12:13], s[4:5], 0x18
	v_mul_u32_u24_e32 v1, 0x13c, v0
	v_mov_b32_e32 v3, 0
	v_add_nc_u32_sdwa v5, s6, v1 dst_sel:DWORD dst_unused:UNUSED_PAD src0_sel:DWORD src1_sel:WORD_1
	v_mov_b32_e32 v1, 0
	v_mov_b32_e32 v6, v3
	v_mov_b32_e32 v2, 0
	s_waitcnt lgkmcnt(0)
	v_cmp_lt_u64_e64 s0, s[10:11], 2
	s_and_b32 vcc_lo, exec_lo, s0
	s_cbranch_vccnz .LBB0_8
; %bb.1:
	s_load_dwordx2 s[0:1], s[4:5], 0x10
	v_mov_b32_e32 v1, 0
	s_add_u32 s6, s12, 8
	v_mov_b32_e32 v2, 0
	s_addc_u32 s7, s13, 0
	s_mov_b64 s[16:17], 1
	s_waitcnt lgkmcnt(0)
	s_add_u32 s14, s0, 8
	s_addc_u32 s15, s1, 0
.LBB0_2:                                ; =>This Inner Loop Header: Depth=1
	s_load_dwordx2 s[18:19], s[14:15], 0x0
                                        ; implicit-def: $vgpr7_vgpr8
	s_mov_b32 s0, exec_lo
	s_waitcnt lgkmcnt(0)
	v_or_b32_e32 v4, s19, v6
	v_cmpx_ne_u64_e32 0, v[3:4]
	s_xor_b32 s1, exec_lo, s0
	s_cbranch_execz .LBB0_4
; %bb.3:                                ;   in Loop: Header=BB0_2 Depth=1
	v_cvt_f32_u32_e32 v4, s18
	v_cvt_f32_u32_e32 v7, s19
	s_sub_u32 s0, 0, s18
	s_subb_u32 s20, 0, s19
	v_fmac_f32_e32 v4, 0x4f800000, v7
	v_rcp_f32_e32 v4, v4
	v_mul_f32_e32 v4, 0x5f7ffffc, v4
	v_mul_f32_e32 v7, 0x2f800000, v4
	v_trunc_f32_e32 v7, v7
	v_fmac_f32_e32 v4, 0xcf800000, v7
	v_cvt_u32_f32_e32 v7, v7
	v_cvt_u32_f32_e32 v4, v4
	v_mul_lo_u32 v8, s0, v7
	v_mul_hi_u32 v9, s0, v4
	v_mul_lo_u32 v10, s20, v4
	v_add_nc_u32_e32 v8, v9, v8
	v_mul_lo_u32 v9, s0, v4
	v_add_nc_u32_e32 v8, v8, v10
	v_mul_hi_u32 v10, v4, v9
	v_mul_lo_u32 v11, v4, v8
	v_mul_hi_u32 v12, v4, v8
	v_mul_hi_u32 v13, v7, v9
	v_mul_lo_u32 v9, v7, v9
	v_mul_hi_u32 v14, v7, v8
	v_mul_lo_u32 v8, v7, v8
	v_add_co_u32 v10, vcc_lo, v10, v11
	v_add_co_ci_u32_e32 v11, vcc_lo, 0, v12, vcc_lo
	v_add_co_u32 v9, vcc_lo, v10, v9
	v_add_co_ci_u32_e32 v9, vcc_lo, v11, v13, vcc_lo
	v_add_co_ci_u32_e32 v10, vcc_lo, 0, v14, vcc_lo
	v_add_co_u32 v8, vcc_lo, v9, v8
	v_add_co_ci_u32_e32 v9, vcc_lo, 0, v10, vcc_lo
	v_add_co_u32 v4, vcc_lo, v4, v8
	v_add_co_ci_u32_e32 v7, vcc_lo, v7, v9, vcc_lo
	v_mul_hi_u32 v8, s0, v4
	v_mul_lo_u32 v10, s20, v4
	v_mul_lo_u32 v9, s0, v7
	v_add_nc_u32_e32 v8, v8, v9
	v_mul_lo_u32 v9, s0, v4
	v_add_nc_u32_e32 v8, v8, v10
	v_mul_hi_u32 v10, v4, v9
	v_mul_lo_u32 v11, v4, v8
	v_mul_hi_u32 v12, v4, v8
	v_mul_hi_u32 v13, v7, v9
	v_mul_lo_u32 v9, v7, v9
	v_mul_hi_u32 v14, v7, v8
	v_mul_lo_u32 v8, v7, v8
	v_add_co_u32 v10, vcc_lo, v10, v11
	v_add_co_ci_u32_e32 v11, vcc_lo, 0, v12, vcc_lo
	v_add_co_u32 v9, vcc_lo, v10, v9
	v_add_co_ci_u32_e32 v9, vcc_lo, v11, v13, vcc_lo
	v_add_co_ci_u32_e32 v10, vcc_lo, 0, v14, vcc_lo
	v_add_co_u32 v8, vcc_lo, v9, v8
	v_add_co_ci_u32_e32 v9, vcc_lo, 0, v10, vcc_lo
	v_add_co_u32 v4, vcc_lo, v4, v8
	v_add_co_ci_u32_e32 v11, vcc_lo, v7, v9, vcc_lo
	v_mul_hi_u32 v13, v5, v4
	v_mad_u64_u32 v[9:10], null, v6, v4, 0
	v_mad_u64_u32 v[7:8], null, v5, v11, 0
	;; [unrolled: 1-line block ×3, first 2 shown]
	v_add_co_u32 v4, vcc_lo, v13, v7
	v_add_co_ci_u32_e32 v7, vcc_lo, 0, v8, vcc_lo
	v_add_co_u32 v4, vcc_lo, v4, v9
	v_add_co_ci_u32_e32 v4, vcc_lo, v7, v10, vcc_lo
	v_add_co_ci_u32_e32 v7, vcc_lo, 0, v12, vcc_lo
	v_add_co_u32 v4, vcc_lo, v4, v11
	v_add_co_ci_u32_e32 v9, vcc_lo, 0, v7, vcc_lo
	v_mul_lo_u32 v10, s19, v4
	v_mad_u64_u32 v[7:8], null, s18, v4, 0
	v_mul_lo_u32 v11, s18, v9
	v_sub_co_u32 v7, vcc_lo, v5, v7
	v_add3_u32 v8, v8, v11, v10
	v_sub_nc_u32_e32 v10, v6, v8
	v_subrev_co_ci_u32_e64 v10, s0, s19, v10, vcc_lo
	v_add_co_u32 v11, s0, v4, 2
	v_add_co_ci_u32_e64 v12, s0, 0, v9, s0
	v_sub_co_u32 v13, s0, v7, s18
	v_sub_co_ci_u32_e32 v8, vcc_lo, v6, v8, vcc_lo
	v_subrev_co_ci_u32_e64 v10, s0, 0, v10, s0
	v_cmp_le_u32_e32 vcc_lo, s18, v13
	v_cmp_eq_u32_e64 s0, s19, v8
	v_cndmask_b32_e64 v13, 0, -1, vcc_lo
	v_cmp_le_u32_e32 vcc_lo, s19, v10
	v_cndmask_b32_e64 v14, 0, -1, vcc_lo
	v_cmp_le_u32_e32 vcc_lo, s18, v7
	;; [unrolled: 2-line block ×3, first 2 shown]
	v_cndmask_b32_e64 v15, 0, -1, vcc_lo
	v_cmp_eq_u32_e32 vcc_lo, s19, v10
	v_cndmask_b32_e64 v7, v15, v7, s0
	v_cndmask_b32_e32 v10, v14, v13, vcc_lo
	v_add_co_u32 v13, vcc_lo, v4, 1
	v_add_co_ci_u32_e32 v14, vcc_lo, 0, v9, vcc_lo
	v_cmp_ne_u32_e32 vcc_lo, 0, v10
	v_cndmask_b32_e32 v8, v14, v12, vcc_lo
	v_cndmask_b32_e32 v10, v13, v11, vcc_lo
	v_cmp_ne_u32_e32 vcc_lo, 0, v7
	v_cndmask_b32_e32 v8, v9, v8, vcc_lo
	v_cndmask_b32_e32 v7, v4, v10, vcc_lo
.LBB0_4:                                ;   in Loop: Header=BB0_2 Depth=1
	s_andn2_saveexec_b32 s0, s1
	s_cbranch_execz .LBB0_6
; %bb.5:                                ;   in Loop: Header=BB0_2 Depth=1
	v_cvt_f32_u32_e32 v4, s18
	s_sub_i32 s1, 0, s18
	v_rcp_iflag_f32_e32 v4, v4
	v_mul_f32_e32 v4, 0x4f7ffffe, v4
	v_cvt_u32_f32_e32 v4, v4
	v_mul_lo_u32 v7, s1, v4
	v_mul_hi_u32 v7, v4, v7
	v_add_nc_u32_e32 v4, v4, v7
	v_mul_hi_u32 v4, v5, v4
	v_mul_lo_u32 v7, v4, s18
	v_add_nc_u32_e32 v8, 1, v4
	v_sub_nc_u32_e32 v7, v5, v7
	v_subrev_nc_u32_e32 v9, s18, v7
	v_cmp_le_u32_e32 vcc_lo, s18, v7
	v_cndmask_b32_e32 v7, v7, v9, vcc_lo
	v_cndmask_b32_e32 v4, v4, v8, vcc_lo
	v_cmp_le_u32_e32 vcc_lo, s18, v7
	v_add_nc_u32_e32 v8, 1, v4
	v_cndmask_b32_e32 v7, v4, v8, vcc_lo
	v_mov_b32_e32 v8, v3
.LBB0_6:                                ;   in Loop: Header=BB0_2 Depth=1
	s_or_b32 exec_lo, exec_lo, s0
	s_load_dwordx2 s[0:1], s[6:7], 0x0
	v_mul_lo_u32 v4, v8, s18
	v_mul_lo_u32 v11, v7, s19
	v_mad_u64_u32 v[9:10], null, v7, s18, 0
	s_add_u32 s16, s16, 1
	s_addc_u32 s17, s17, 0
	s_add_u32 s6, s6, 8
	s_addc_u32 s7, s7, 0
	;; [unrolled: 2-line block ×3, first 2 shown]
	v_add3_u32 v4, v10, v11, v4
	v_sub_co_u32 v5, vcc_lo, v5, v9
	v_sub_co_ci_u32_e32 v4, vcc_lo, v6, v4, vcc_lo
	s_waitcnt lgkmcnt(0)
	v_mul_lo_u32 v6, s1, v5
	v_mul_lo_u32 v4, s0, v4
	v_mad_u64_u32 v[1:2], null, s0, v5, v[1:2]
	v_cmp_ge_u64_e64 s0, s[16:17], s[10:11]
	s_and_b32 vcc_lo, exec_lo, s0
	v_add3_u32 v2, v6, v2, v4
	s_cbranch_vccnz .LBB0_9
; %bb.7:                                ;   in Loop: Header=BB0_2 Depth=1
	v_mov_b32_e32 v5, v7
	v_mov_b32_e32 v6, v8
	s_branch .LBB0_2
.LBB0_8:
	v_mov_b32_e32 v8, v6
	v_mov_b32_e32 v7, v5
.LBB0_9:
	s_lshl_b64 s[0:1], s[10:11], 3
	v_mul_hi_u32 v3, 0x13b13b2, v0
	s_add_u32 s0, s12, s0
	s_addc_u32 s1, s13, s1
	s_load_dwordx2 s[0:1], s[0:1], 0x0
	s_load_dwordx2 s[4:5], s[4:5], 0x20
	v_mul_u32_u24_e32 v3, 0xd0, v3
	v_sub_nc_u32_e32 v0, v0, v3
	v_lshl_add_u32 v20, v0, 2, 0
	s_waitcnt lgkmcnt(0)
	v_mul_lo_u32 v4, s0, v8
	v_mul_lo_u32 v5, s1, v7
	v_mad_u64_u32 v[1:2], null, s0, v7, v[1:2]
	v_cmp_gt_u64_e32 vcc_lo, s[4:5], v[7:8]
	v_add3_u32 v2, v5, v2, v4
	v_lshlrev_b64 v[2:3], 2, v[1:2]
	s_and_saveexec_b32 s1, vcc_lo
	s_cbranch_execz .LBB0_11
; %bb.10:
	v_mov_b32_e32 v1, 0
	v_lshlrev_b64 v[4:5], 2, v[0:1]
	v_add_co_u32 v1, s0, s2, v2
	v_add_co_ci_u32_e64 v6, s0, s3, v3, s0
	v_add_co_u32 v4, s0, v1, v4
	v_add_co_ci_u32_e64 v5, s0, v6, v5, s0
	;; [unrolled: 2-line block ×3, first 2 shown]
	s_clause 0x4
	global_load_dword v1, v[4:5], off
	global_load_dword v8, v[4:5], off offset:832
	global_load_dword v4, v[4:5], off offset:1664
	;; [unrolled: 1-line block ×4, first 2 shown]
	v_add_nc_u32_e32 v7, 0x600, v20
	s_waitcnt vmcnt(3)
	ds_write2_b32 v20, v1, v8 offset1:208
	s_waitcnt vmcnt(1)
	ds_write2_b32 v7, v4, v5 offset0:32 offset1:240
	s_waitcnt vmcnt(0)
	ds_write_b32 v20, v6 offset:3328
.LBB0_11:
	s_or_b32 exec_lo, exec_lo, s1
	s_waitcnt lgkmcnt(0)
	s_barrier
	buffer_gl0_inv
	ds_read2_b32 v[7:8], v20 offset1:80
	ds_read_b32 v1, v20 offset:3840
	ds_read2_b32 v[5:6], v20 offset0:160 offset1:240
	v_add_nc_u32_e32 v4, 0x400, v20
	v_add_nc_u32_e32 v13, 0x600, v20
	;; [unrolled: 1-line block ×4, first 2 shown]
	v_mov_b32_e32 v19, 0xb770
	ds_read2_b32 v[9:10], v4 offset0:64 offset1:144
	v_mov_b32_e32 v26, 0xbb7b
	ds_read2_b32 v[11:12], v11 offset0:32 offset1:112
	ds_read2_b32 v[15:16], v13 offset0:96 offset1:176
	;; [unrolled: 1-line block ×3, first 2 shown]
	v_mov_b32_e32 v27, 0xb9fd
	v_mov_b32_e32 v22, 0xba95
	;; [unrolled: 1-line block ×8, first 2 shown]
	s_waitcnt lgkmcnt(6)
	v_pk_add_f16 v4, v7, v8
	s_waitcnt lgkmcnt(5)
	v_pk_add_f16 v14, v8, v1 neg_lo:[0,1] neg_hi:[0,1]
	v_pk_add_f16 v28, v1, v8
	s_mov_b32 s1, exec_lo
	s_waitcnt lgkmcnt(0)
	v_pk_add_f16 v4, v4, v5
	v_mul_f16_sdwa v8, v14, v19 dst_sel:DWORD dst_unused:UNUSED_PAD src0_sel:WORD_1 src1_sel:DWORD
	v_mul_f16_sdwa v32, v14, v26 dst_sel:DWORD dst_unused:UNUSED_PAD src0_sel:WORD_1 src1_sel:DWORD
	;; [unrolled: 1-line block ×4, first 2 shown]
	v_pk_add_f16 v4, v4, v6
	v_pk_add_f16 v35, v5, v12 neg_lo:[0,1] neg_hi:[0,1]
	v_fmamk_f16 v36, v28, 0x3b15, v8
	v_fmamk_f16 v42, v28, 0xb5ac, v32
	v_fma_f16 v32, v28, 0xb5ac, -v32
	v_pk_add_f16 v4, v4, v9
	v_fmamk_f16 v43, v14, 0x394e, v34
	v_pk_add_f16 v45, v12, v5
	v_mul_f16_sdwa v19, v14, v22 dst_sel:DWORD dst_unused:UNUSED_PAD src0_sel:WORD_1 src1_sel:DWORD
	v_add_f16_e32 v36, v7, v36
	v_pk_add_f16 v4, v4, v10
	v_mul_f16_sdwa v29, v28, v23 dst_sel:DWORD dst_unused:UNUSED_PAD src0_sel:WORD_1 src1_sel:DWORD
	v_fmamk_f16 v37, v14, 0x3770, v13
	v_fma_f16 v8, v28, 0x3b15, -v8
	v_fmac_f16_e32 v13, 0xb770, v14
	v_pk_add_f16 v4, v4, v15
	v_fmamk_f16 v38, v28, 0x388b, v19
	v_mul_f16_sdwa v46, v45, v23 dst_sel:DWORD dst_unused:UNUSED_PAD src0_sel:WORD_1 src1_sel:DWORD
	v_fmamk_f16 v39, v14, 0x3a95, v29
	v_add_f16_sdwa v37, v7, v37 dst_sel:DWORD dst_unused:UNUSED_PAD src0_sel:WORD_1 src1_sel:DWORD
	v_pk_add_f16 v4, v4, v16
	v_add_f16_e32 v8, v7, v8
	v_add_f16_sdwa v13, v7, v13 dst_sel:DWORD dst_unused:UNUSED_PAD src0_sel:WORD_1 src1_sel:DWORD
	v_add_f16_e32 v38, v7, v38
	v_fmamk_f16 v48, v35, 0x3a95, v46
	v_pk_add_f16 v4, v4, v17
	v_mul_f16_sdwa v49, v45, v47 dst_sel:DWORD dst_unused:UNUSED_PAD src0_sel:WORD_1 src1_sel:DWORD
	v_fmac_f16_e32 v46, 0xba95, v35
	v_mul_f16_sdwa v30, v14, v24 dst_sel:DWORD dst_unused:UNUSED_PAD src0_sel:WORD_1 src1_sel:DWORD
	v_fma_f16 v19, v28, 0x388b, -v19
	v_pk_add_f16 v4, v4, v18
	v_fmac_f16_e32 v29, 0xba95, v14
	v_add_f16_sdwa v39, v7, v39 dst_sel:DWORD dst_unused:UNUSED_PAD src0_sel:WORD_1 src1_sel:DWORD
	v_add_f16_e32 v37, v48, v37
	v_fmamk_f16 v48, v35, 0x3b7b, v49
	v_pk_add_f16 v4, v4, v11
	v_fmamk_f16 v40, v28, 0x2fb7, v30
	v_add_f16_e32 v19, v7, v19
	v_add_f16_sdwa v29, v7, v29 dst_sel:DWORD dst_unused:UNUSED_PAD src0_sel:WORD_1 src1_sel:DWORD
	v_add_f16_e32 v39, v48, v39
	v_pk_add_f16 v4, v4, v12
	v_add_f16_e32 v12, v7, v32
	v_add_f16_sdwa v32, v7, v43 dst_sel:DWORD dst_unused:UNUSED_PAD src0_sel:WORD_1 src1_sel:DWORD
	v_fmac_f16_e32 v49, 0xbb7b, v35
	v_mul_f16_sdwa v31, v28, v25 dst_sel:DWORD dst_unused:UNUSED_PAD src0_sel:WORD_1 src1_sel:DWORD
	v_pk_add_f16 v4, v4, v1
	v_mul_f16_sdwa v1, v35, v22 dst_sel:DWORD dst_unused:UNUSED_PAD src0_sel:WORD_1 src1_sel:DWORD
	v_fma_f16 v30, v28, 0x2fb7, -v30
	v_add_f16_e32 v40, v7, v40
	v_add_f16_e32 v29, v49, v29
	v_pk_mul_f16 v33, 0xb94ebb7b, v14
	v_fmamk_f16 v43, v45, 0x388b, v1
	v_fma_f16 v1, v45, 0x388b, -v1
	v_fmamk_f16 v41, v14, 0x3bf1, v31
	v_fmac_f16_e32 v31, 0xbbf1, v14
	v_add_f16_e32 v30, v7, v30
	v_add_f16_e32 v36, v43, v36
	v_mul_f16_sdwa v43, v35, v26 dst_sel:DWORD dst_unused:UNUSED_PAD src0_sel:WORD_1 src1_sel:DWORD
	v_add_f16_e32 v1, v1, v8
	v_add_f16_e32 v8, v46, v13
	v_mov_b32_e32 v46, 0xbbc4
	v_add_f16_e32 v42, v7, v42
	v_fmamk_f16 v50, v45, 0xb5ac, v43
	v_fma_f16 v43, v45, 0xb5ac, -v43
	v_pk_fma_f16 v44, 0xb5acb9fd, v28, v33 op_sel:[0,0,1] op_sel_hi:[1,1,0] neg_lo:[0,0,1] neg_hi:[0,0,1]
	v_mul_f16_sdwa v51, v45, v46 dst_sel:DWORD dst_unused:UNUSED_PAD src0_sel:WORD_1 src1_sel:DWORD
	v_pk_fma_f16 v33, 0xb5acb9fd, v28, v33 op_sel:[0,0,1] op_sel_hi:[1,1,0]
	v_add_f16_e32 v13, v50, v38
	v_mov_b32_e32 v38, 0xb3a8
	v_mov_b32_e32 v50, 0x394e
	v_add_f16_e32 v19, v43, v19
	v_add_f16_sdwa v41, v7, v41 dst_sel:DWORD dst_unused:UNUSED_PAD src0_sel:WORD_1 src1_sel:DWORD
	v_add_f16_sdwa v31, v7, v31 dst_sel:DWORD dst_unused:UNUSED_PAD src0_sel:WORD_1 src1_sel:DWORD
	v_mul_f16_sdwa v48, v35, v38 dst_sel:DWORD dst_unused:UNUSED_PAD src0_sel:WORD_1 src1_sel:DWORD
	v_mul_f16_sdwa v49, v35, v50 dst_sel:DWORD dst_unused:UNUSED_PAD src0_sel:WORD_1 src1_sel:DWORD
	v_fmamk_f16 v52, v35, 0x33a8, v51
	v_fmac_f16_e32 v51, 0xb3a8, v35
	v_bfi_b32 v5, 0xffff, v44, v33
	v_fmamk_f16 v43, v45, 0xbbc4, v48
	v_fma_f16 v48, v45, 0xbbc4, -v48
	v_fmac_f16_e32 v34, 0xb94e, v14
	v_add_f16_e32 v41, v52, v41
	v_add_f16_e32 v31, v51, v31
	;; [unrolled: 1-line block ×3, first 2 shown]
	v_fmamk_f16 v43, v45, 0xb9fd, v49
	v_add_f16_e32 v30, v48, v30
	v_pk_mul_f16 v48, 0x3bf1394e, v35
	v_mul_f16_sdwa v51, v45, v25 dst_sel:DWORD dst_unused:UNUSED_PAD src0_sel:WORD_1 src1_sel:DWORD
	v_pk_add_f16 v53, v11, v6
	v_add_f16_e32 v42, v43, v42
	v_fma_f16 v43, v45, 0xb9fd, -v49
	v_pk_add_f16 v49, v6, v11 neg_lo:[0,1] neg_hi:[0,1]
	v_pk_fma_f16 v52, 0xb9fd2fb7, v45, v48 op_sel:[0,0,1] op_sel_hi:[1,1,0] neg_lo:[0,0,1] neg_hi:[0,0,1]
	v_pk_fma_f16 v48, 0xb9fd2fb7, v45, v48 op_sel:[0,0,1] op_sel_hi:[1,1,0]
	v_pk_add_f16 v5, v7, v5
	v_add_f16_sdwa v34, v7, v34 dst_sel:DWORD dst_unused:UNUSED_PAD src0_sel:WORD_1 src1_sel:DWORD
	v_mul_f16_sdwa v6, v49, v24 dst_sel:DWORD dst_unused:UNUSED_PAD src0_sel:WORD_1 src1_sel:DWORD
	v_add_f16_e32 v11, v43, v12
	v_fmamk_f16 v12, v35, 0xbbf1, v51
	v_bfi_b32 v43, 0xffff, v52, v48
	v_fmac_f16_e32 v51, 0x3bf1, v35
	v_fmamk_f16 v54, v53, 0x2fb7, v6
	v_mul_f16_sdwa v55, v53, v25 dst_sel:DWORD dst_unused:UNUSED_PAD src0_sel:WORD_1 src1_sel:DWORD
	v_add_f16_e32 v12, v12, v32
	v_pk_add_f16 v5, v43, v5
	v_add_f16_e32 v32, v51, v34
	v_add_f16_e32 v34, v54, v36
	v_fmamk_f16 v36, v49, 0x3bf1, v55
	v_mul_f16_sdwa v43, v49, v38 dst_sel:DWORD dst_unused:UNUSED_PAD src0_sel:WORD_1 src1_sel:DWORD
	v_mul_f16_sdwa v51, v53, v46 dst_sel:DWORD dst_unused:UNUSED_PAD src0_sel:WORD_1 src1_sel:DWORD
	v_fma_f16 v6, v53, 0x2fb7, -v6
	v_fmac_f16_e32 v55, 0xbbf1, v49
	v_add_f16_e32 v36, v36, v37
	v_fmamk_f16 v37, v53, 0xbbc4, v43
	v_fmamk_f16 v54, v49, 0x33a8, v51
	v_add_f16_e32 v1, v6, v1
	v_add_f16_e32 v6, v55, v8
	v_mov_b32_e32 v8, 0x3b7b
	v_add_f16_e32 v13, v37, v13
	v_add_f16_e32 v37, v54, v39
	v_fma_f16 v39, v53, 0xbbc4, -v43
	v_fmac_f16_e32 v51, 0xb3a8, v49
	v_mul_f16_sdwa v8, v49, v8 dst_sel:DWORD dst_unused:UNUSED_PAD src0_sel:WORD_1 src1_sel:DWORD
	v_mov_b32_e32 v43, 0x3770
	v_mul_f16_sdwa v54, v53, v47 dst_sel:DWORD dst_unused:UNUSED_PAD src0_sel:WORD_1 src1_sel:DWORD
	v_add_f16_e32 v19, v39, v19
	v_add_f16_e32 v29, v51, v29
	v_fmamk_f16 v39, v53, 0xb5ac, v8
	v_mul_f16_sdwa v51, v49, v43 dst_sel:DWORD dst_unused:UNUSED_PAD src0_sel:WORD_1 src1_sel:DWORD
	v_fmamk_f16 v55, v49, 0xbb7b, v54
	v_fma_f16 v8, v53, 0xb5ac, -v8
	v_fmac_f16_e32 v54, 0x3b7b, v49
	v_add_f16_e32 v39, v39, v40
	v_fmamk_f16 v40, v53, 0x3b15, v51
	v_add_f16_e32 v41, v55, v41
	v_add_f16_e32 v8, v8, v30
	;; [unrolled: 1-line block ×3, first 2 shown]
	v_pk_mul_f16 v31, 0xba953770, v49
	v_add_f16_e32 v40, v40, v42
	v_fma_f16 v42, v53, 0x3b15, -v51
	v_pk_add_f16 v51, v9, v18 neg_lo:[0,1] neg_hi:[0,1]
	v_mul_f16_sdwa v54, v53, v23 dst_sel:DWORD dst_unused:UNUSED_PAD src0_sel:WORD_1 src1_sel:DWORD
	v_pk_fma_f16 v55, 0x3b15388b, v53, v31 op_sel:[0,0,1] op_sel_hi:[1,1,0] neg_lo:[0,0,1] neg_hi:[0,0,1]
	v_pk_fma_f16 v31, 0x3b15388b, v53, v31 op_sel:[0,0,1] op_sel_hi:[1,1,0]
	v_pk_add_f16 v18, v18, v9
	v_mul_f16_sdwa v9, v51, v26 dst_sel:DWORD dst_unused:UNUSED_PAD src0_sel:WORD_1 src1_sel:DWORD
	v_fmamk_f16 v26, v49, 0x3a95, v54
	v_fmac_f16_e32 v54, 0xba95, v49
	v_add_f16_e32 v11, v42, v11
	v_bfi_b32 v42, 0xffff, v55, v31
	v_fmamk_f16 v56, v18, 0xb5ac, v9
	v_add_f16_e32 v12, v26, v12
	v_mul_f16_sdwa v26, v18, v47 dst_sel:DWORD dst_unused:UNUSED_PAD src0_sel:WORD_1 src1_sel:DWORD
	v_add_f16_e32 v32, v54, v32
	v_fma_f16 v9, v18, 0xb5ac, -v9
	v_mul_f16_sdwa v54, v18, v27 dst_sel:DWORD dst_unused:UNUSED_PAD src0_sel:WORD_1 src1_sel:DWORD
	v_pk_add_f16 v5, v42, v5
	v_mul_f16_sdwa v42, v51, v50 dst_sel:DWORD dst_unused:UNUSED_PAD src0_sel:WORD_1 src1_sel:DWORD
	v_fmamk_f16 v50, v51, 0x3b7b, v26
	v_fmac_f16_e32 v26, 0xbb7b, v51
	v_add_f16_e32 v1, v9, v1
	v_fmamk_f16 v9, v51, 0xb94e, v54
	v_fmac_f16_e32 v54, 0x394e, v51
	v_mul_f16_sdwa v24, v51, v24 dst_sel:DWORD dst_unused:UNUSED_PAD src0_sel:WORD_1 src1_sel:DWORD
	v_add_f16_e32 v6, v26, v6
	v_fma_f16 v26, v18, 0xb9fd, -v42
	v_add_f16_e32 v9, v9, v37
	v_mul_f16_sdwa v37, v51, v43 dst_sel:DWORD dst_unused:UNUSED_PAD src0_sel:WORD_1 src1_sel:DWORD
	v_add_f16_e32 v34, v56, v34
	v_fmamk_f16 v56, v18, 0xb9fd, v42
	v_mul_f16_sdwa v42, v18, v21 dst_sel:DWORD dst_unused:UNUSED_PAD src0_sel:WORD_1 src1_sel:DWORD
	v_add_f16_e32 v19, v26, v19
	v_add_f16_e32 v26, v54, v29
	v_fmamk_f16 v29, v18, 0x3b15, v37
	v_fma_f16 v37, v18, 0x3b15, -v37
	v_fmamk_f16 v54, v18, 0x2fb7, v24
	v_add_f16_e32 v36, v50, v36
	v_fmamk_f16 v50, v51, 0xb770, v42
	v_fmac_f16_e32 v42, 0x3770, v51
	v_add_f16_e32 v8, v37, v8
	v_add_f16_e32 v37, v54, v40
	v_pk_mul_f16 v40, 0x33a8bbf1, v51
	v_add_f16_e32 v29, v29, v39
	v_add_f16_e32 v39, v50, v41
	v_add_f16_e32 v30, v42, v30
	v_fma_f16 v24, v18, 0x2fb7, -v24
	v_mul_f16_sdwa v41, v18, v46 dst_sel:DWORD dst_unused:UNUSED_PAD src0_sel:WORD_1 src1_sel:DWORD
	v_pk_add_f16 v42, v10, v17 neg_lo:[0,1] neg_hi:[0,1]
	v_mov_b32_e32 v50, 0xb94e
	v_pk_fma_f16 v54, 0x2fb7bbc4, v18, v40 op_sel:[0,0,1] op_sel_hi:[1,1,0] neg_lo:[0,0,1] neg_hi:[0,0,1]
	v_pk_fma_f16 v40, 0x2fb7bbc4, v18, v40 op_sel:[0,0,1] op_sel_hi:[1,1,0]
	v_add_f16_e32 v13, v56, v13
	v_fmamk_f16 v56, v51, 0xb3a8, v41
	v_pk_add_f16 v17, v17, v10
	v_mul_f16_sdwa v10, v42, v50 dst_sel:DWORD dst_unused:UNUSED_PAD src0_sel:WORD_1 src1_sel:DWORD
	v_add_f16_e32 v11, v24, v11
	v_bfi_b32 v24, 0xffff, v54, v40
	v_add_f16_e32 v12, v56, v12
	v_fmac_f16_e32 v41, 0x33a8, v51
	v_fmamk_f16 v56, v17, 0xb9fd, v10
	v_fma_f16 v10, v17, 0xb9fd, -v10
	v_pk_add_f16 v5, v24, v5
	v_mul_f16_sdwa v24, v17, v27 dst_sel:DWORD dst_unused:UNUSED_PAD src0_sel:WORD_1 src1_sel:DWORD
	v_add_f16_e32 v32, v41, v32
	v_add_f16_e32 v34, v56, v34
	v_mul_f16_sdwa v41, v42, v57 dst_sel:DWORD dst_unused:UNUSED_PAD src0_sel:WORD_1 src1_sel:DWORD
	v_mul_f16_sdwa v25, v17, v25 dst_sel:DWORD dst_unused:UNUSED_PAD src0_sel:WORD_1 src1_sel:DWORD
	v_fmamk_f16 v56, v42, 0x394e, v24
	v_fmac_f16_e32 v24, 0xb94e, v42
	v_add_f16_e32 v10, v10, v1
	v_fma_f16 v1, v17, 0x2fb7, -v41
	v_fmamk_f16 v58, v42, 0xbbf1, v25
	v_fmac_f16_e32 v25, 0x3bf1, v42
	v_add_f16_e32 v24, v24, v6
	v_mul_f16_sdwa v6, v42, v22 dst_sel:DWORD dst_unused:UNUSED_PAD src0_sel:WORD_1 src1_sel:DWORD
	v_mov_b32_e32 v22, 0x33a8
	v_mul_f16_sdwa v23, v17, v23 dst_sel:DWORD dst_unused:UNUSED_PAD src0_sel:WORD_1 src1_sel:DWORD
	v_add_f16_e32 v19, v1, v19
	v_add_f16_e32 v25, v25, v26
	v_fmamk_f16 v1, v17, 0x388b, v6
	v_mul_f16_sdwa v22, v42, v22 dst_sel:DWORD dst_unused:UNUSED_PAD src0_sel:WORD_1 src1_sel:DWORD
	v_fmamk_f16 v26, v42, 0x3a95, v23
	v_fma_f16 v6, v17, 0x388b, -v6
	v_fmamk_f16 v57, v17, 0x2fb7, v41
	v_add_f16_e32 v29, v1, v29
	v_fmamk_f16 v1, v17, 0xbbc4, v22
	v_add_f16_e32 v26, v26, v39
	v_add_f16_e32 v39, v6, v8
	v_pk_mul_f16 v6, 0x377033a8, v42
	v_pk_add_f16 v41, v15, v16 neg_lo:[0,1] neg_hi:[0,1]
	v_add_f16_e32 v37, v1, v37
	v_fma_f16 v1, v17, 0xbbc4, -v22
	v_mul_f16_sdwa v8, v17, v21 dst_sel:DWORD dst_unused:UNUSED_PAD src0_sel:WORD_1 src1_sel:DWORD
	v_add_f16_e32 v36, v56, v36
	v_add_f16_e32 v13, v57, v13
	v_fmac_f16_e32 v23, 0xba95, v42
	v_pk_fma_f16 v56, 0xbbc43b15, v17, v6 op_sel:[0,0,1] op_sel_hi:[1,1,0] neg_lo:[0,0,1] neg_hi:[0,0,1]
	v_pk_fma_f16 v57, 0xbbc43b15, v17, v6 op_sel:[0,0,1] op_sel_hi:[1,1,0]
	v_pk_add_f16 v16, v16, v15
	v_mul_f16_sdwa v6, v41, v38 dst_sel:DWORD dst_unused:UNUSED_PAD src0_sel:WORD_1 src1_sel:DWORD
	v_add_f16_e32 v15, v1, v11
	v_fmamk_f16 v1, v42, 0xb770, v8
	v_fmac_f16_e32 v8, 0x3770, v42
	v_add_f16_e32 v30, v23, v30
	v_bfi_b32 v11, 0xffff, v56, v57
	v_fmamk_f16 v22, v16, 0xbbc4, v6
	v_mul_f16_sdwa v23, v16, v46 dst_sel:DWORD dst_unused:UNUSED_PAD src0_sel:WORD_1 src1_sel:DWORD
	v_add_f16_e32 v38, v1, v12
	v_add_f16_e32 v32, v8, v32
	v_mul_f16_sdwa v8, v41, v43 dst_sel:DWORD dst_unused:UNUSED_PAD src0_sel:WORD_1 src1_sel:DWORD
	v_fma_f16 v6, v16, 0xbbc4, -v6
	v_mul_f16_sdwa v12, v16, v21 dst_sel:DWORD dst_unused:UNUSED_PAD src0_sel:WORD_1 src1_sel:DWORD
	v_add_f16_e32 v9, v58, v9
	v_pk_add_f16 v46, v11, v5
	v_fmamk_f16 v1, v41, 0x33a8, v23
	v_fmac_f16_e32 v23, 0xb3a8, v41
	v_fmamk_f16 v11, v16, 0x3b15, v8
	v_add_f16_e32 v6, v6, v10
	v_fmamk_f16 v10, v41, 0xb770, v12
	v_add_f16_e32 v5, v22, v34
	v_add_f16_e32 v21, v23, v24
	v_fma_f16 v23, v16, 0x3b15, -v8
	v_add_f16_e32 v8, v11, v13
	v_fmac_f16_e32 v12, 0x3770, v41
	v_mul_f16_sdwa v13, v41, v50 dst_sel:DWORD dst_unused:UNUSED_PAD src0_sel:WORD_1 src1_sel:DWORD
	v_add_f16_e32 v22, v10, v9
	v_bfi_b32 v9, 0xffff, v33, v44
	v_add_f16_e32 v11, v23, v19
	v_add_f16_e32 v23, v12, v25
	v_fmamk_f16 v10, v16, 0xb9fd, v13
	v_mul_f16_sdwa v12, v16, v27 dst_sel:DWORD dst_unused:UNUSED_PAD src0_sel:WORD_1 src1_sel:DWORD
	v_mov_b32_e32 v19, 0x3a95
	v_pk_add_f16 v24, v7, v9
	v_bfi_b32 v25, 0xffff, v48, v52
	v_add_f16_e32 v9, v10, v29
	v_fmamk_f16 v10, v41, 0x394e, v12
	v_fma_f16 v13, v16, 0xb9fd, -v13
	v_mul_f16_sdwa v19, v41, v19 dst_sel:DWORD dst_unused:UNUSED_PAD src0_sel:WORD_1 src1_sel:DWORD
	v_pk_add_f16 v24, v25, v24
	v_bfi_b32 v27, 0xffff, v31, v55
	v_add_f16_e32 v25, v10, v26
	v_fmac_f16_e32 v12, 0xb94e, v41
	v_add_f16_e32 v10, v13, v39
	v_fmamk_f16 v13, v16, 0x388b, v19
	v_pk_add_f16 v26, v27, v24
	v_bfi_b32 v27, 0xffff, v40, v54
	v_add_f16_e32 v24, v12, v30
	v_pk_mul_f16 v29, 0xbb7b3a95, v41
	v_add_f16_e32 v12, v13, v37
	v_fma_f16 v13, v16, 0x388b, -v19
	v_pk_add_f16 v19, v27, v26
	v_bfi_b32 v26, 0xffff, v57, v56
	v_pk_mul_f16 v28, 0xbbc4, v28 op_sel_hi:[0,1]
	v_pk_fma_f16 v27, 0x388bb5ac, v16, v29 op_sel:[0,0,1] op_sel_hi:[1,1,0] neg_lo:[0,0,1] neg_hi:[0,0,1]
	v_pk_fma_f16 v29, 0x388bb5ac, v16, v29 op_sel:[0,0,1] op_sel_hi:[1,1,0]
	v_add_f16_e32 v15, v13, v15
	v_pk_add_f16 v13, v26, v19
	v_mul_f16_sdwa v19, v16, v47 dst_sel:DWORD dst_unused:UNUSED_PAD src0_sel:WORD_1 src1_sel:DWORD
	v_pk_fma_f16 v30, 0xb3a8, v14, v28 op_sel:[0,0,1] op_sel_hi:[0,1,0] neg_lo:[0,1,0] neg_hi:[0,1,0]
	v_pk_mul_f16 v31, 0x3b15, v45 op_sel_hi:[0,1]
	v_bfi_b32 v26, 0xffff, v29, v27
	v_bfi_b32 v27, 0xffff, v27, v29
	v_fmamk_f16 v29, v41, 0x3b7b, v19
	v_pk_add_f16 v30, v7, v30 op_sel:[1,0] op_sel_hi:[0,1]
	v_pk_fma_f16 v33, 0x3770, v35, v31 op_sel:[0,0,1] op_sel_hi:[0,1,0] neg_lo:[0,1,0] neg_hi:[0,1,0]
	v_pk_mul_f16 v34, 0xb9fd, v53 op_sel_hi:[0,1]
	v_pk_fma_f16 v14, 0xb3a8, v14, v28 op_sel:[0,0,1] op_sel_hi:[0,1,0]
	v_pk_add_f16 v13, v26, v13
	v_add_f16_e32 v26, v29, v38
	v_pk_fma_f16 v28, 0x3770, v35, v31 op_sel:[0,0,1] op_sel_hi:[0,1,0]
	v_pk_add_f16 v29, v33, v30
	v_pk_fma_f16 v30, 0xb94e, v49, v34 op_sel:[0,0,1] op_sel_hi:[0,1,0] neg_lo:[0,1,0] neg_hi:[0,1,0]
	v_add_f16_sdwa v31, v7, v14 dst_sel:DWORD dst_unused:UNUSED_PAD src0_sel:DWORD src1_sel:WORD_1
	v_add_f16_sdwa v7, v7, v14 dst_sel:DWORD dst_unused:UNUSED_PAD src0_sel:WORD_1 src1_sel:DWORD
	v_pk_mul_f16 v18, 0x388b, v18 op_sel_hi:[0,1]
	v_pk_fma_f16 v33, 0xb94e, v49, v34 op_sel:[0,0,1] op_sel_hi:[0,1,0]
	v_pk_add_f16 v14, v30, v29
	v_add_f16_sdwa v30, v28, v31 dst_sel:DWORD dst_unused:UNUSED_PAD src0_sel:WORD_1 src1_sel:DWORD
	v_add_f16_e32 v7, v28, v7
	v_pk_fma_f16 v29, 0x3a95, v51, v18 op_sel:[0,0,1] op_sel_hi:[0,1,0] neg_lo:[0,1,0] neg_hi:[0,1,0]
	v_pk_mul_f16 v17, 0xb5ac, v17 op_sel_hi:[0,1]
	v_pk_fma_f16 v18, 0x3a95, v51, v18 op_sel:[0,0,1] op_sel_hi:[0,1,0]
	v_add_f16_sdwa v28, v33, v30 dst_sel:DWORD dst_unused:UNUSED_PAD src0_sel:WORD_1 src1_sel:DWORD
	v_add_f16_e32 v7, v33, v7
	v_pk_add_f16 v14, v29, v14
	v_pk_fma_f16 v29, 0xbb7b, v42, v17 op_sel:[0,0,1] op_sel_hi:[0,1,0]
	v_pk_fma_f16 v17, 0xbb7b, v42, v17 op_sel:[0,0,1] op_sel_hi:[0,1,0] neg_lo:[0,1,0] neg_hi:[0,1,0]
	v_pk_mul_f16 v16, 0x2fb7, v16 op_sel_hi:[0,1]
	v_add_f16_sdwa v28, v18, v28 dst_sel:DWORD dst_unused:UNUSED_PAD src0_sel:WORD_1 src1_sel:DWORD
	v_add_f16_e32 v7, v18, v7
	v_fmac_f16_e32 v19, 0xbb7b, v41
	v_pk_add_f16 v17, v17, v14
	v_pk_fma_f16 v18, 0x3bf1, v41, v16 op_sel:[0,0,1] op_sel_hi:[0,1,0]
	v_add_f16_sdwa v28, v29, v28 dst_sel:DWORD dst_unused:UNUSED_PAD src0_sel:WORD_1 src1_sel:DWORD
	v_pk_fma_f16 v30, 0x3bf1, v41, v16 op_sel:[0,0,1] op_sel_hi:[0,1,0] neg_lo:[0,1,0] neg_hi:[0,1,0]
	v_add_f16_e32 v7, v29, v7
	v_add_f16_e32 v1, v1, v36
	v_pk_add_f16 v14, v27, v46
	v_add_f16_e32 v27, v19, v32
	v_add_f16_sdwa v16, v18, v28 dst_sel:DWORD dst_unused:UNUSED_PAD src0_sel:WORD_1 src1_sel:DWORD
	v_pk_add_f16 v28, v30, v17
	v_add_f16_e32 v29, v18, v7
	s_barrier
	buffer_gl0_inv
	v_cmpx_gt_u32_e32 0x50, v0
	s_cbranch_execz .LBB0_13
; %bb.12:
	v_mad_u32_u24 v7, v0, 48, v20
	v_perm_b32 v17, v1, v5, 0x5040100
	v_perm_b32 v18, v25, v9, 0x5040100
	;; [unrolled: 1-line block ×3, first 2 shown]
	v_alignbit_b32 v30, v29, v28, 16
	ds_write2_b32 v7, v4, v17 offset1:1
	ds_write2_b32 v7, v19, v18 offset0:2 offset1:3
	v_bfi_b32 v17, 0xffff, v12, v13
	v_perm_b32 v18, v26, v13, 0x5040100
	v_perm_b32 v19, v28, v16, 0x5040100
	v_bfi_b32 v31, 0xffff, v15, v14
	v_perm_b32 v32, v27, v14, 0x5040100
	v_perm_b32 v33, v23, v11, 0x5040100
	;; [unrolled: 1-line block ×4, first 2 shown]
	ds_write2_b32 v7, v17, v18 offset0:4 offset1:5
	ds_write2_b32 v7, v19, v30 offset0:6 offset1:7
	;; [unrolled: 1-line block ×4, first 2 shown]
	ds_write_b32 v7, v35 offset:48
.LBB0_13:
	s_or_b32 exec_lo, exec_lo, s1
	v_cmp_gt_u32_e64 s0, 0x41, v0
	v_lshrrev_b32_e32 v30, 16, v13
	v_lshrrev_b32_e32 v17, 16, v28
	s_waitcnt lgkmcnt(0)
	s_barrier
	buffer_gl0_inv
                                        ; implicit-def: $vgpr31
                                        ; implicit-def: $vgpr32
                                        ; implicit-def: $vgpr18
                                        ; implicit-def: $vgpr33
	s_and_saveexec_b32 s1, s0
	s_cbranch_execz .LBB0_15
; %bb.14:
	v_add_nc_u32_e32 v1, 0x800, v20
	v_add_nc_u32_e32 v12, 0xc00, v20
	ds_read2_b32 v[4:5], v20 offset1:65
	ds_read2_b32 v[8:9], v20 offset0:130 offset1:195
	ds_read2_b32 v[14:15], v1 offset0:8 offset1:73
	;; [unrolled: 1-line block ×3, first 2 shown]
	v_add_nc_u32_e32 v1, 0x400, v20
	ds_read2_b32 v[6:7], v12 offset0:12 offset1:77
	ds_read2_b32 v[18:19], v12 offset0:142 offset1:207
	;; [unrolled: 1-line block ×4, first 2 shown]
	s_waitcnt lgkmcnt(7)
	v_lshrrev_b32_e32 v1, 16, v5
	s_waitcnt lgkmcnt(6)
	v_lshrrev_b32_e32 v22, 16, v8
	v_lshrrev_b32_e32 v25, 16, v9
	s_waitcnt lgkmcnt(5)
	v_lshrrev_b32_e32 v27, 16, v14
	s_waitcnt lgkmcnt(4)
	v_lshrrev_b32_e32 v24, 16, v10
	v_lshrrev_b32_e32 v23, 16, v11
	s_waitcnt lgkmcnt(3)
	v_lshrrev_b32_e32 v21, 16, v6
	;; [unrolled: 3-line block ×5, first 2 shown]
	v_lshrrev_b32_e32 v29, 16, v17
	v_bfi_b32 v14, 0xffff, v14, v15
.LBB0_15:
	s_or_b32 exec_lo, exec_lo, s1
	s_barrier
	buffer_gl0_inv
	s_and_saveexec_b32 s1, s0
	s_cbranch_execz .LBB0_17
; %bb.16:
	v_and_b32_e32 v34, 0xff, v0
	v_mov_b32_e32 v35, 15
	v_mov_b32_e32 v51, 0xd0
	v_mul_lo_u16 v34, 0x4f, v34
	v_lshrrev_b16 v49, 10, v34
	v_mul_lo_u16 v34, v49, 13
	v_mul_u32_u24_sdwa v49, v49, v51 dst_sel:DWORD dst_unused:UNUSED_PAD src0_sel:WORD_0 src1_sel:DWORD
	v_lshrrev_b32_e32 v51, 16, v4
	v_sub_nc_u16 v50, v0, v34
	v_mul_u32_u24_sdwa v34, v50, v35 dst_sel:DWORD dst_unused:UNUSED_PAD src0_sel:BYTE_0 src1_sel:DWORD
	v_or_b32_sdwa v49, v49, v50 dst_sel:DWORD dst_unused:UNUSED_PAD src0_sel:DWORD src1_sel:BYTE_0
	v_lshrrev_b32_e32 v50, 16, v14
	v_lshlrev_b32_e32 v46, 2, v34
	v_lshl_add_u32 v49, v49, 2, 0
	s_clause 0x3
	global_load_dwordx4 v[34:37], v46, s[8:9]
	global_load_dwordx4 v[38:41], v46, s[8:9] offset:32
	global_load_dwordx4 v[42:45], v46, s[8:9] offset:16
	global_load_dwordx3 v[46:48], v46, s[8:9] offset:48
	s_waitcnt vmcnt(3)
	v_mul_f16_sdwa v56, v25, v36 dst_sel:DWORD dst_unused:UNUSED_PAD src0_sel:DWORD src1_sel:WORD_1
	v_mul_f16_sdwa v57, v22, v35 dst_sel:DWORD dst_unused:UNUSED_PAD src0_sel:DWORD src1_sel:WORD_1
	s_waitcnt vmcnt(1)
	v_mul_f16_sdwa v54, v29, v44 dst_sel:DWORD dst_unused:UNUSED_PAD src0_sel:DWORD src1_sel:WORD_1
	v_mul_f16_sdwa v58, v23, v40 dst_sel:DWORD dst_unused:UNUSED_PAD src0_sel:DWORD src1_sel:WORD_1
	;; [unrolled: 1-line block ×5, first 2 shown]
	s_waitcnt vmcnt(0)
	v_mul_f16_sdwa v55, v33, v48 dst_sel:DWORD dst_unused:UNUSED_PAD src0_sel:DWORD src1_sel:WORD_1
	v_mul_f16_sdwa v59, v17, v44 dst_sel:DWORD dst_unused:UNUSED_PAD src0_sel:DWORD src1_sel:WORD_1
	v_fmac_f16_e32 v56, v9, v36
	v_fmac_f16_e32 v57, v8, v35
	v_mul_f16_sdwa v8, v8, v35 dst_sel:DWORD dst_unused:UNUSED_PAD src0_sel:DWORD src1_sel:WORD_1
	v_mul_f16_sdwa v9, v28, v43 dst_sel:DWORD dst_unused:UNUSED_PAD src0_sel:DWORD src1_sel:WORD_1
	v_fmac_f16_e32 v58, v11, v40
	v_fmac_f16_e32 v60, v10, v39
	v_mul_f16_sdwa v10, v10, v39 dst_sel:DWORD dst_unused:UNUSED_PAD src0_sel:DWORD src1_sel:WORD_1
	v_mul_f16_sdwa v11, v32, v47 dst_sel:DWORD dst_unused:UNUSED_PAD src0_sel:DWORD src1_sel:WORD_1
	v_fmac_f16_e32 v54, v17, v44
	v_mul_f16_sdwa v17, v19, v48 dst_sel:DWORD dst_unused:UNUSED_PAD src0_sel:DWORD src1_sel:WORD_1
	v_fmac_f16_e32 v9, v16, v43
	;; [unrolled: 2-line block ×3, first 2 shown]
	v_fmac_f16_e32 v11, v18, v47
	v_mul_f16_sdwa v18, v18, v47 dst_sel:DWORD dst_unused:UNUSED_PAD src0_sel:DWORD src1_sel:WORD_1
	v_mul_f16_sdwa v19, v5, v34 dst_sel:DWORD dst_unused:UNUSED_PAD src0_sel:DWORD src1_sel:WORD_1
	v_fma_f16 v25, v25, v36, -v52
	v_mul_f16_sdwa v36, v15, v38 dst_sel:DWORD dst_unused:UNUSED_PAD src0_sel:DWORD src1_sel:WORD_1
	v_fma_f16 v17, v33, v48, -v17
	v_mul_f16_sdwa v33, v27, v45 dst_sel:DWORD dst_unused:UNUSED_PAD src0_sel:DWORD src1_sel:WORD_1
	v_fma_f16 v8, v22, v35, -v8
	v_mul_f16_sdwa v22, v12, v37 dst_sel:DWORD dst_unused:UNUSED_PAD src0_sel:DWORD src1_sel:WORD_1
	v_fma_f16 v10, v24, v39, -v10
	v_mul_f16_sdwa v24, v6, v41 dst_sel:DWORD dst_unused:UNUSED_PAD src0_sel:DWORD src1_sel:WORD_1
	v_fma_f16 v23, v23, v40, -v53
	v_mul_f16_sdwa v40, v26, v42 dst_sel:DWORD dst_unused:UNUSED_PAD src0_sel:DWORD src1_sel:WORD_1
	v_fma_f16 v29, v29, v44, -v59
	v_mul_f16_sdwa v44, v31, v46 dst_sel:DWORD dst_unused:UNUSED_PAD src0_sel:DWORD src1_sel:WORD_1
	v_fma_f16 v19, v1, v34, -v19
	v_mul_f16_sdwa v1, v1, v34 dst_sel:DWORD dst_unused:UNUSED_PAD src0_sel:DWORD src1_sel:WORD_1
	v_fma_f16 v35, v50, v38, -v36
	v_mul_f16_sdwa v36, v50, v38 dst_sel:DWORD dst_unused:UNUSED_PAD src0_sel:DWORD src1_sel:WORD_1
	v_fma_f16 v16, v28, v43, -v16
	v_mul_f16_sdwa v28, v13, v42 dst_sel:DWORD dst_unused:UNUSED_PAD src0_sel:DWORD src1_sel:WORD_1
	v_fma_f16 v18, v32, v47, -v18
	v_mul_f16_sdwa v32, v7, v46 dst_sel:DWORD dst_unused:UNUSED_PAD src0_sel:DWORD src1_sel:WORD_1
	v_fmac_f16_e32 v33, v14, v45
	v_mul_f16_sdwa v14, v14, v45 dst_sel:DWORD dst_unused:UNUSED_PAD src0_sel:DWORD src1_sel:WORD_1
	v_fma_f16 v22, v30, v37, -v22
	v_mul_f16_sdwa v30, v30, v37 dst_sel:DWORD dst_unused:UNUSED_PAD src0_sel:DWORD src1_sel:WORD_1
	v_fma_f16 v24, v21, v41, -v24
	v_mul_f16_sdwa v21, v21, v41 dst_sel:DWORD dst_unused:UNUSED_PAD src0_sel:DWORD src1_sel:WORD_1
	v_fmac_f16_e32 v40, v13, v42
	v_fmac_f16_e32 v44, v7, v46
	v_fmac_f16_e32 v1, v5, v34
	v_fmac_f16_e32 v36, v15, v38
	v_fma_f16 v5, v26, v42, -v28
	v_fma_f16 v7, v31, v46, -v32
	;; [unrolled: 1-line block ×3, first 2 shown]
	v_fmac_f16_e32 v30, v12, v37
	v_fmac_f16_e32 v21, v6, v41
	v_sub_f16_e32 v6, v19, v35
	v_sub_f16_e32 v12, v40, v44
	;; [unrolled: 1-line block ×18, first 2 shown]
	v_add_f16_e32 v33, v23, v17
	v_add_f16_e32 v34, v26, v24
	v_sub_f16_e32 v35, v10, v11
	v_add_f16_e32 v36, v27, v18
	v_add_f16_e32 v37, v28, v7
	v_sub_f16_e32 v38, v13, v21
	v_fma_f16 v19, v19, 2.0, -v6
	v_fma_f16 v5, v5, 2.0, -v7
	v_fma_f16 v7, v56, 2.0, -v23
	v_fma_f16 v15, v54, 2.0, -v15
	v_fma_f16 v4, v4, 2.0, -v26
	v_fma_f16 v21, v30, 2.0, -v21
	v_fma_f16 v8, v8, 2.0, -v10
	v_fma_f16 v16, v16, 2.0, -v18
	v_fma_f16 v1, v1, 2.0, -v28
	v_fma_f16 v12, v40, 2.0, -v12
	v_fma_f16 v18, v25, 2.0, -v14
	v_fma_f16 v17, v29, 2.0, -v17
	v_fma_f16 v25, v51, 2.0, -v13
	v_fma_f16 v22, v22, 2.0, -v24
	v_fma_f16 v24, v57, 2.0, -v27
	v_fma_f16 v9, v9, 2.0, -v11
	v_fmamk_f16 v11, v32, 0x39a8, v31
	v_fmamk_f16 v29, v36, 0x39a8, v34
	;; [unrolled: 1-line block ×4, first 2 shown]
	v_fma_f16 v6, v6, 2.0, -v31
	v_fma_f16 v14, v14, 2.0, -v32
	;; [unrolled: 1-line block ×8, first 2 shown]
	v_sub_f16_e32 v5, v19, v5
	v_sub_f16_e32 v15, v7, v15
	;; [unrolled: 1-line block ×8, first 2 shown]
	v_fmac_f16_e32 v11, 0xb9a8, v33
	v_fmac_f16_e32 v29, 0x39a8, v35
	;; [unrolled: 1-line block ×4, first 2 shown]
	v_fmamk_f16 v32, v14, 0xb9a8, v6
	v_fmamk_f16 v33, v27, 0xb9a8, v26
	;; [unrolled: 1-line block ×4, first 2 shown]
	v_sub_f16_e32 v40, v5, v15
	v_add_f16_e32 v41, v21, v16
	v_add_f16_e32 v42, v12, v17
	v_sub_f16_e32 v43, v22, v9
	v_fma_f16 v4, v4, 2.0, -v21
	v_fma_f16 v9, v24, 2.0, -v9
	;; [unrolled: 1-line block ×8, first 2 shown]
	v_fmac_f16_e32 v32, 0xb9a8, v23
	v_fmac_f16_e32 v33, 0x39a8, v10
	;; [unrolled: 1-line block ×4, first 2 shown]
	v_fmamk_f16 v10, v30, 0x3b64, v29
	v_fmamk_f16 v14, v11, 0x3b64, v39
	;; [unrolled: 1-line block ×3, first 2 shown]
	v_fma_f16 v5, v5, 2.0, -v40
	v_fma_f16 v21, v21, 2.0, -v41
	;; [unrolled: 1-line block ×4, first 2 shown]
	v_sub_f16_e32 v9, v4, v9
	v_sub_f16_e32 v17, v19, v17
	v_fma_f16 v15, v31, 2.0, -v11
	v_fma_f16 v16, v34, 2.0, -v29
	;; [unrolled: 1-line block ×4, first 2 shown]
	v_fmamk_f16 v27, v40, 0x39a8, v43
	v_sub_f16_e32 v8, v18, v8
	v_sub_f16_e32 v7, v1, v7
	v_fmac_f16_e32 v10, 0x361f, v11
	v_fmac_f16_e32 v14, 0xb61f, v30
	;; [unrolled: 1-line block ×3, first 2 shown]
	v_fmamk_f16 v11, v12, 0xb9a8, v21
	v_fmamk_f16 v30, v5, 0xb9a8, v22
	v_add_f16_e32 v40, v9, v17
	v_fma_f16 v26, v26, 2.0, -v33
	v_fma_f16 v6, v6, 2.0, -v32
	;; [unrolled: 1-line block ×4, first 2 shown]
	v_fmamk_f16 v31, v24, 0xb61f, v16
	v_fmamk_f16 v34, v15, 0xb61f, v25
	v_fmac_f16_e32 v27, 0xb9a8, v42
	v_sub_f16_e32 v42, v8, v7
	v_fma_f16 v4, v4, 2.0, -v9
	v_fma_f16 v1, v1, 2.0, -v7
	;; [unrolled: 1-line block ×4, first 2 shown]
	v_fmamk_f16 v37, v35, 0x361f, v33
	v_fmamk_f16 v38, v32, 0x361f, v36
	v_fmac_f16_e32 v11, 0x39a8, v5
	v_fmac_f16_e32 v30, 0xb9a8, v12
	v_fma_f16 v5, v9, 2.0, -v40
	v_fmamk_f16 v9, v28, 0xbb64, v26
	v_fmamk_f16 v12, v6, 0xbb64, v13
	v_fmac_f16_e32 v31, 0x3b64, v15
	v_fmac_f16_e32 v34, 0xbb64, v24
	v_sub_f16_e32 v1, v4, v1
	v_sub_f16_e32 v17, v7, v17
	v_fmac_f16_e32 v37, 0x3b64, v32
	v_fmac_f16_e32 v38, 0xbb64, v35
	v_fma_f16 v15, v29, 2.0, -v10
	v_fma_f16 v18, v39, 2.0, -v14
	;; [unrolled: 1-line block ×5, first 2 shown]
	v_fmac_f16_e32 v9, 0x361f, v6
	v_fmac_f16_e32 v12, 0xb61f, v28
	v_fma_f16 v16, v16, 2.0, -v31
	v_fma_f16 v25, v25, 2.0, -v34
	;; [unrolled: 1-line block ×6, first 2 shown]
	v_pack_b32_f16 v23, v23, v27
	v_pack_b32_f16 v10, v10, v14
	v_fma_f16 v14, v33, 2.0, -v37
	v_fma_f16 v27, v36, 2.0, -v38
	v_pack_b32_f16 v5, v5, v8
	v_pack_b32_f16 v7, v19, v24
	;; [unrolled: 1-line block ×3, first 2 shown]
	v_fma_f16 v18, v26, 2.0, -v9
	v_fma_f16 v13, v13, 2.0, -v12
	v_pack_b32_f16 v29, v40, v42
	v_pack_b32_f16 v1, v1, v17
	;; [unrolled: 1-line block ×9, first 2 shown]
	ds_write2_b32 v49, v7, v8 offset0:78 offset1:91
	v_pack_b32_f16 v7, v9, v12
	v_pack_b32_f16 v8, v18, v13
	ds_write2_b32 v49, v11, v15 offset0:130 offset1:143
	ds_write2_b32 v49, v29, v17 offset0:156 offset1:169
	;; [unrolled: 1-line block ×5, first 2 shown]
	ds_write2_b32 v49, v4, v8 offset1:13
	ds_write2_b32 v49, v23, v10 offset0:182 offset1:195
.LBB0_17:
	s_or_b32 exec_lo, exec_lo, s1
	v_lshlrev_b32_e32 v4, 2, v0
	v_mov_b32_e32 v5, 0
	s_waitcnt lgkmcnt(0)
	s_barrier
	buffer_gl0_inv
	v_add_nc_u32_e32 v1, 0x600, v20
	v_lshlrev_b64 v[6:7], 2, v[4:5]
	s_add_u32 s1, s8, 0x100c
	s_addc_u32 s4, s9, 0
	s_mov_b32 s5, exec_lo
	v_add_co_u32 v6, s0, s8, v6
	v_add_co_ci_u32_e64 v7, s0, s9, v7, s0
	global_load_dwordx4 v[6:9], v[6:7], off offset:780
	ds_read2_b32 v[10:11], v20 offset1:208
	ds_read2_b32 v[12:13], v1 offset0:32 offset1:240
	ds_read_b32 v14, v20 offset:3328
	ds_read_u16 v15, v20 offset:2
	s_waitcnt vmcnt(0) lgkmcnt(0)
	s_barrier
	buffer_gl0_inv
	v_lshrrev_b32_e32 v16, 16, v11
	v_lshrrev_b32_e32 v17, 16, v12
	;; [unrolled: 1-line block ×4, first 2 shown]
	v_mul_f16_sdwa v21, v6, v16 dst_sel:DWORD dst_unused:UNUSED_PAD src0_sel:WORD_1 src1_sel:DWORD
	v_mul_f16_sdwa v22, v6, v11 dst_sel:DWORD dst_unused:UNUSED_PAD src0_sel:WORD_1 src1_sel:DWORD
	;; [unrolled: 1-line block ×8, first 2 shown]
	v_fmac_f16_e32 v21, v6, v11
	v_fma_f16 v6, v6, v16, -v22
	v_fmac_f16_e32 v23, v7, v12
	v_fma_f16 v7, v7, v17, -v24
	;; [unrolled: 2-line block ×4, first 2 shown]
	v_add_f16_e32 v24, v15, v6
	v_add_f16_e32 v12, v23, v25
	;; [unrolled: 1-line block ×6, first 2 shown]
	v_sub_f16_e32 v13, v6, v11
	v_sub_f16_e32 v14, v7, v8
	;; [unrolled: 1-line block ×9, first 2 shown]
	v_fma_f16 v12, -0.5, v12, v10
	v_fmac_f16_e32 v10, -0.5, v18
	v_add_f16_e32 v7, v24, v7
	v_fma_f16 v18, -0.5, v26, v15
	v_sub_f16_e32 v28, v23, v25
	v_fmac_f16_e32 v15, -0.5, v31
	v_sub_f16_e32 v30, v11, v8
	v_sub_f16_e32 v32, v8, v11
	v_add_f16_e32 v9, v9, v23
	v_add_f16_e32 v16, v16, v17
	;; [unrolled: 1-line block ×3, first 2 shown]
	v_fmamk_f16 v22, v13, 0xbb9c, v12
	v_add_f16_e32 v7, v7, v8
	v_fmamk_f16 v8, v21, 0x3b9c, v18
	v_fmamk_f16 v23, v14, 0x3b9c, v10
	v_fmac_f16_e32 v10, 0xbb9c, v14
	v_fmamk_f16 v24, v28, 0xbb9c, v15
	v_fmac_f16_e32 v15, 0x3b9c, v28
	v_fmac_f16_e32 v12, 0x3b9c, v13
	;; [unrolled: 1-line block ×3, first 2 shown]
	v_add_f16_e32 v19, v29, v30
	v_add_f16_e32 v9, v9, v25
	v_fmac_f16_e32 v22, 0xb8b4, v14
	v_fmac_f16_e32 v8, 0x38b4, v28
	v_add_f16_e32 v6, v6, v32
	v_fmac_f16_e32 v23, 0xb8b4, v13
	v_fmac_f16_e32 v10, 0x38b4, v13
	;; [unrolled: 1-line block ×6, first 2 shown]
	v_add_f16_e32 v9, v9, v27
	v_add_f16_e32 v7, v7, v11
	v_fmac_f16_e32 v22, 0x34f2, v16
	v_fmac_f16_e32 v8, 0x34f2, v19
	v_fmac_f16_e32 v23, 0x34f2, v17
	v_fmac_f16_e32 v10, 0x34f2, v17
	v_fmac_f16_e32 v24, 0x34f2, v6
	v_fmac_f16_e32 v15, 0x34f2, v6
	v_fmac_f16_e32 v12, 0x34f2, v16
	v_fmac_f16_e32 v18, 0x34f2, v19
	v_pack_b32_f16 v6, v9, v7
	v_pack_b32_f16 v7, v22, v8
	v_pack_b32_f16 v8, v23, v24
	v_pack_b32_f16 v9, v10, v15
	v_pack_b32_f16 v10, v12, v18
	ds_write2_b32 v20, v6, v7 offset1:208
	ds_write2_b32 v1, v8, v9 offset0:32 offset1:240
	ds_write_b32 v20, v10 offset:3328
	s_waitcnt lgkmcnt(0)
	s_barrier
	buffer_gl0_inv
	ds_read_b32 v9, v20
	v_sub_nc_u32_e32 v8, 0, v4
                                        ; implicit-def: $vgpr11
                                        ; implicit-def: $vgpr10
                                        ; implicit-def: $vgpr6_vgpr7
	v_cmpx_ne_u32_e32 0, v0
	s_xor_b32 s5, exec_lo, s5
	s_cbranch_execz .LBB0_19
; %bb.18:
	v_mov_b32_e32 v1, v5
	v_lshlrev_b64 v[4:5], 2, v[0:1]
	v_add_co_u32 v4, s0, s1, v4
	v_add_co_ci_u32_e64 v5, s0, s4, v5, s0
	global_load_dword v4, v[4:5], off
	ds_read_b32 v5, v8 offset:4160
	s_waitcnt lgkmcnt(0)
	v_sub_f16_e32 v6, v9, v5
	v_add_f16_sdwa v7, v5, v9 dst_sel:DWORD dst_unused:UNUSED_PAD src0_sel:WORD_1 src1_sel:WORD_1
	v_sub_f16_sdwa v10, v9, v5 dst_sel:DWORD dst_unused:UNUSED_PAD src0_sel:WORD_1 src1_sel:WORD_1
	v_add_f16_e32 v5, v5, v9
	v_mul_f16_e32 v6, 0.5, v6
	v_mul_f16_e32 v7, 0.5, v7
	;; [unrolled: 1-line block ×3, first 2 shown]
	s_waitcnt vmcnt(0)
	v_lshrrev_b32_e32 v11, 16, v4
	v_mul_f16_e32 v9, v11, v6
	v_fma_f16 v12, v7, v11, v10
	v_fma_f16 v11, v7, v11, -v10
	v_fma_f16 v10, 0.5, v5, v9
	v_fma_f16 v5, v5, 0.5, -v9
	v_fma_f16 v9, -v4, v6, v12
	v_fma_f16 v12, -v4, v6, v11
	ds_write_b16 v20, v9 offset:2
	ds_write_b16 v8, v12 offset:4162
	v_fmac_f16_e32 v10, v4, v7
	v_fma_f16 v11, -v4, v7, v5
	v_mov_b32_e32 v7, v1
	v_mov_b32_e32 v6, v0
                                        ; implicit-def: $vgpr9
.LBB0_19:
	s_andn2_saveexec_b32 s0, s5
	s_cbranch_execz .LBB0_21
; %bb.20:
	v_mov_b32_e32 v1, 0
	v_mov_b32_e32 v6, 0
	s_waitcnt lgkmcnt(0)
	v_add_f16_sdwa v10, v9, v9 dst_sel:DWORD dst_unused:UNUSED_PAD src0_sel:WORD_1 src1_sel:DWORD
	v_mov_b32_e32 v7, 0
	v_sub_f16_sdwa v11, v9, v9 dst_sel:DWORD dst_unused:UNUSED_PAD src0_sel:DWORD src1_sel:WORD_1
	ds_write_b16 v20, v1 offset:2
	ds_write_b16 v8, v1 offset:4162
	ds_read_u16 v4, v1 offset:2082
	s_waitcnt lgkmcnt(0)
	v_xor_b32_e32 v4, 0x8000, v4
	ds_write_b16 v1, v4 offset:2082
.LBB0_21:
	s_or_b32 exec_lo, exec_lo, s0
	v_lshlrev_b64 v[4:5], 2, v[6:7]
	v_add_co_u32 v6, s0, s1, v4
	v_add_co_ci_u32_e64 v7, s0, s4, v5, s0
	s_mov_b32 s1, exec_lo
	global_load_dword v1, v[6:7], off offset:832
	ds_write_b16 v20, v10
	ds_write_b16 v8, v11 offset:4160
	s_waitcnt lgkmcnt(2)
	ds_read_b32 v9, v20 offset:832
	ds_read_b32 v10, v8 offset:3328
	s_waitcnt lgkmcnt(0)
	v_pk_add_f16 v11, v9, v10 neg_lo:[0,1] neg_hi:[0,1]
	v_pk_add_f16 v9, v9, v10
	v_bfi_b32 v10, 0xffff, v11, v9
	v_bfi_b32 v9, 0xffff, v9, v11
	v_pk_mul_f16 v10, v10, 0.5 op_sel_hi:[1,0]
	v_pk_mul_f16 v9, v9, 0.5 op_sel_hi:[1,0]
	s_waitcnt vmcnt(0)
	v_pk_fma_f16 v11, v1, v10, v9 op_sel:[1,0,0]
	v_pk_mul_f16 v12, v1, v10 op_sel_hi:[0,1]
	v_pk_fma_f16 v13, v1, v10, v9 op_sel:[1,0,0] neg_lo:[1,0,0] neg_hi:[1,0,0]
	v_pk_fma_f16 v1, v1, v10, v9 op_sel:[1,0,0] neg_lo:[0,0,1] neg_hi:[0,0,1]
	v_pk_add_f16 v9, v11, v12 op_sel:[0,1] op_sel_hi:[1,0]
	v_pk_add_f16 v10, v11, v12 op_sel:[0,1] op_sel_hi:[1,0] neg_lo:[0,1] neg_hi:[0,1]
	v_pk_add_f16 v11, v13, v12 op_sel:[0,1] op_sel_hi:[1,0] neg_lo:[0,1] neg_hi:[0,1]
	;; [unrolled: 1-line block ×3, first 2 shown]
	v_bfi_b32 v9, 0xffff, v9, v10
	v_bfi_b32 v1, 0xffff, v11, v1
	ds_write_b32 v20, v9 offset:832
	ds_write_b32 v8, v1 offset:3328
	v_cmpx_gt_u32_e32 0x68, v0
	s_cbranch_execz .LBB0_23
; %bb.22:
	global_load_dword v1, v[6:7], off offset:1664
	ds_read_b32 v6, v20 offset:1664
	ds_read_b32 v7, v8 offset:2496
	s_waitcnt lgkmcnt(0)
	v_pk_add_f16 v9, v6, v7 neg_lo:[0,1] neg_hi:[0,1]
	v_pk_add_f16 v6, v6, v7
	v_bfi_b32 v7, 0xffff, v9, v6
	v_bfi_b32 v6, 0xffff, v6, v9
	v_pk_mul_f16 v7, v7, 0.5 op_sel_hi:[1,0]
	v_pk_mul_f16 v6, v6, 0.5 op_sel_hi:[1,0]
	s_waitcnt vmcnt(0)
	v_pk_fma_f16 v9, v1, v7, v6 op_sel:[1,0,0]
	v_pk_mul_f16 v10, v1, v7 op_sel_hi:[0,1]
	v_pk_fma_f16 v11, v1, v7, v6 op_sel:[1,0,0] neg_lo:[1,0,0] neg_hi:[1,0,0]
	v_pk_fma_f16 v1, v1, v7, v6 op_sel:[1,0,0] neg_lo:[0,0,1] neg_hi:[0,0,1]
	v_pk_add_f16 v6, v9, v10 op_sel:[0,1] op_sel_hi:[1,0]
	v_pk_add_f16 v7, v9, v10 op_sel:[0,1] op_sel_hi:[1,0] neg_lo:[0,1] neg_hi:[0,1]
	v_pk_add_f16 v9, v11, v10 op_sel:[0,1] op_sel_hi:[1,0] neg_lo:[0,1] neg_hi:[0,1]
	;; [unrolled: 1-line block ×3, first 2 shown]
	v_bfi_b32 v6, 0xffff, v6, v7
	v_bfi_b32 v1, 0xffff, v9, v1
	ds_write_b32 v20, v6 offset:1664
	ds_write_b32 v8, v1 offset:2496
.LBB0_23:
	s_or_b32 exec_lo, exec_lo, s1
	s_waitcnt lgkmcnt(0)
	s_barrier
	buffer_gl0_inv
	s_and_saveexec_b32 s0, vcc_lo
	s_cbranch_execz .LBB0_26
; %bb.24:
	v_add_nc_u32_e32 v1, 0x600, v20
	ds_read2_b32 v[6:7], v20 offset1:208
	ds_read2_b32 v[8:9], v1 offset0:32 offset1:240
	ds_read_b32 v12, v20 offset:3328
	v_add_co_u32 v1, vcc_lo, s2, v2
	v_add_co_ci_u32_e32 v2, vcc_lo, s3, v3, vcc_lo
	v_add_co_u32 v3, vcc_lo, v1, v4
	v_add_co_ci_u32_e32 v4, vcc_lo, v2, v5, vcc_lo
	;; [unrolled: 2-line block ×3, first 2 shown]
	v_cmp_eq_u32_e32 vcc_lo, 0xcf, v0
	s_waitcnt lgkmcnt(2)
	global_store_dword v[3:4], v6, off
	global_store_dword v[3:4], v7, off offset:832
	s_waitcnt lgkmcnt(1)
	global_store_dword v[3:4], v8, off offset:1664
	global_store_dword v[10:11], v9, off offset:448
	s_waitcnt lgkmcnt(0)
	global_store_dword v[10:11], v12, off offset:1280
	s_and_b32 exec_lo, exec_lo, vcc_lo
	s_cbranch_execz .LBB0_26
; %bb.25:
	v_mov_b32_e32 v0, 0
	ds_read_b32 v3, v0 offset:4160
	v_add_co_u32 v0, vcc_lo, 0x1000, v1
	v_add_co_ci_u32_e32 v1, vcc_lo, 0, v2, vcc_lo
	s_waitcnt lgkmcnt(0)
	global_store_dword v[0:1], v3, off offset:64
.LBB0_26:
	s_endpgm
	.section	.rodata,"a",@progbits
	.p2align	6, 0x0
	.amdhsa_kernel fft_rtc_back_len1040_factors_13_16_5_wgs_208_tpt_208_halfLds_half_ip_CI_unitstride_sbrr_R2C_dirReg
		.amdhsa_group_segment_fixed_size 0
		.amdhsa_private_segment_fixed_size 0
		.amdhsa_kernarg_size 88
		.amdhsa_user_sgpr_count 6
		.amdhsa_user_sgpr_private_segment_buffer 1
		.amdhsa_user_sgpr_dispatch_ptr 0
		.amdhsa_user_sgpr_queue_ptr 0
		.amdhsa_user_sgpr_kernarg_segment_ptr 1
		.amdhsa_user_sgpr_dispatch_id 0
		.amdhsa_user_sgpr_flat_scratch_init 0
		.amdhsa_user_sgpr_private_segment_size 0
		.amdhsa_wavefront_size32 1
		.amdhsa_uses_dynamic_stack 0
		.amdhsa_system_sgpr_private_segment_wavefront_offset 0
		.amdhsa_system_sgpr_workgroup_id_x 1
		.amdhsa_system_sgpr_workgroup_id_y 0
		.amdhsa_system_sgpr_workgroup_id_z 0
		.amdhsa_system_sgpr_workgroup_info 0
		.amdhsa_system_vgpr_workitem_id 0
		.amdhsa_next_free_vgpr 61
		.amdhsa_next_free_sgpr 21
		.amdhsa_reserve_vcc 1
		.amdhsa_reserve_flat_scratch 0
		.amdhsa_float_round_mode_32 0
		.amdhsa_float_round_mode_16_64 0
		.amdhsa_float_denorm_mode_32 3
		.amdhsa_float_denorm_mode_16_64 3
		.amdhsa_dx10_clamp 1
		.amdhsa_ieee_mode 1
		.amdhsa_fp16_overflow 0
		.amdhsa_workgroup_processor_mode 1
		.amdhsa_memory_ordered 1
		.amdhsa_forward_progress 0
		.amdhsa_shared_vgpr_count 0
		.amdhsa_exception_fp_ieee_invalid_op 0
		.amdhsa_exception_fp_denorm_src 0
		.amdhsa_exception_fp_ieee_div_zero 0
		.amdhsa_exception_fp_ieee_overflow 0
		.amdhsa_exception_fp_ieee_underflow 0
		.amdhsa_exception_fp_ieee_inexact 0
		.amdhsa_exception_int_div_zero 0
	.end_amdhsa_kernel
	.text
.Lfunc_end0:
	.size	fft_rtc_back_len1040_factors_13_16_5_wgs_208_tpt_208_halfLds_half_ip_CI_unitstride_sbrr_R2C_dirReg, .Lfunc_end0-fft_rtc_back_len1040_factors_13_16_5_wgs_208_tpt_208_halfLds_half_ip_CI_unitstride_sbrr_R2C_dirReg
                                        ; -- End function
	.section	.AMDGPU.csdata,"",@progbits
; Kernel info:
; codeLenInByte = 8100
; NumSgprs: 23
; NumVgprs: 61
; ScratchSize: 0
; MemoryBound: 0
; FloatMode: 240
; IeeeMode: 1
; LDSByteSize: 0 bytes/workgroup (compile time only)
; SGPRBlocks: 2
; VGPRBlocks: 7
; NumSGPRsForWavesPerEU: 23
; NumVGPRsForWavesPerEU: 61
; Occupancy: 16
; WaveLimiterHint : 1
; COMPUTE_PGM_RSRC2:SCRATCH_EN: 0
; COMPUTE_PGM_RSRC2:USER_SGPR: 6
; COMPUTE_PGM_RSRC2:TRAP_HANDLER: 0
; COMPUTE_PGM_RSRC2:TGID_X_EN: 1
; COMPUTE_PGM_RSRC2:TGID_Y_EN: 0
; COMPUTE_PGM_RSRC2:TGID_Z_EN: 0
; COMPUTE_PGM_RSRC2:TIDIG_COMP_CNT: 0
	.text
	.p2alignl 6, 3214868480
	.fill 48, 4, 3214868480
	.type	__hip_cuid_7ca9190324e99b06,@object ; @__hip_cuid_7ca9190324e99b06
	.section	.bss,"aw",@nobits
	.globl	__hip_cuid_7ca9190324e99b06
__hip_cuid_7ca9190324e99b06:
	.byte	0                               ; 0x0
	.size	__hip_cuid_7ca9190324e99b06, 1

	.ident	"AMD clang version 19.0.0git (https://github.com/RadeonOpenCompute/llvm-project roc-6.4.0 25133 c7fe45cf4b819c5991fe208aaa96edf142730f1d)"
	.section	".note.GNU-stack","",@progbits
	.addrsig
	.addrsig_sym __hip_cuid_7ca9190324e99b06
	.amdgpu_metadata
---
amdhsa.kernels:
  - .args:
      - .actual_access:  read_only
        .address_space:  global
        .offset:         0
        .size:           8
        .value_kind:     global_buffer
      - .offset:         8
        .size:           8
        .value_kind:     by_value
      - .actual_access:  read_only
        .address_space:  global
        .offset:         16
        .size:           8
        .value_kind:     global_buffer
      - .actual_access:  read_only
        .address_space:  global
        .offset:         24
        .size:           8
        .value_kind:     global_buffer
      - .offset:         32
        .size:           8
        .value_kind:     by_value
      - .actual_access:  read_only
        .address_space:  global
        .offset:         40
        .size:           8
        .value_kind:     global_buffer
      - .actual_access:  read_only
        .address_space:  global
        .offset:         48
        .size:           8
        .value_kind:     global_buffer
      - .offset:         56
        .size:           4
        .value_kind:     by_value
      - .actual_access:  read_only
        .address_space:  global
        .offset:         64
        .size:           8
        .value_kind:     global_buffer
      - .actual_access:  read_only
        .address_space:  global
        .offset:         72
        .size:           8
        .value_kind:     global_buffer
      - .address_space:  global
        .offset:         80
        .size:           8
        .value_kind:     global_buffer
    .group_segment_fixed_size: 0
    .kernarg_segment_align: 8
    .kernarg_segment_size: 88
    .language:       OpenCL C
    .language_version:
      - 2
      - 0
    .max_flat_workgroup_size: 208
    .name:           fft_rtc_back_len1040_factors_13_16_5_wgs_208_tpt_208_halfLds_half_ip_CI_unitstride_sbrr_R2C_dirReg
    .private_segment_fixed_size: 0
    .sgpr_count:     23
    .sgpr_spill_count: 0
    .symbol:         fft_rtc_back_len1040_factors_13_16_5_wgs_208_tpt_208_halfLds_half_ip_CI_unitstride_sbrr_R2C_dirReg.kd
    .uniform_work_group_size: 1
    .uses_dynamic_stack: false
    .vgpr_count:     61
    .vgpr_spill_count: 0
    .wavefront_size: 32
    .workgroup_processor_mode: 1
amdhsa.target:   amdgcn-amd-amdhsa--gfx1030
amdhsa.version:
  - 1
  - 2
...

	.end_amdgpu_metadata
